;; amdgpu-corpus repo=ROCm/rocFFT kind=compiled arch=gfx1201 opt=O3
	.text
	.amdgcn_target "amdgcn-amd-amdhsa--gfx1201"
	.amdhsa_code_object_version 6
	.protected	fft_rtc_back_len200_factors_10_10_2_wgs_60_tpt_20_halfLds_half_op_CI_CI_unitstride_sbrr_C2R_dirReg ; -- Begin function fft_rtc_back_len200_factors_10_10_2_wgs_60_tpt_20_halfLds_half_op_CI_CI_unitstride_sbrr_C2R_dirReg
	.globl	fft_rtc_back_len200_factors_10_10_2_wgs_60_tpt_20_halfLds_half_op_CI_CI_unitstride_sbrr_C2R_dirReg
	.p2align	8
	.type	fft_rtc_back_len200_factors_10_10_2_wgs_60_tpt_20_halfLds_half_op_CI_CI_unitstride_sbrr_C2R_dirReg,@function
fft_rtc_back_len200_factors_10_10_2_wgs_60_tpt_20_halfLds_half_op_CI_CI_unitstride_sbrr_C2R_dirReg: ; @fft_rtc_back_len200_factors_10_10_2_wgs_60_tpt_20_halfLds_half_op_CI_CI_unitstride_sbrr_C2R_dirReg
; %bb.0:
	s_load_b128 s[8:11], s[0:1], 0x0
	v_mul_u32_u24_e32 v1, 0xccd, v0
	s_clause 0x1
	s_load_b128 s[4:7], s[0:1], 0x58
	s_load_b128 s[12:15], s[0:1], 0x18
	v_mov_b32_e32 v10, 0
	v_mov_b32_e32 v6, 0
	;; [unrolled: 1-line block ×3, first 2 shown]
	v_lshrrev_b32_e32 v1, 16, v1
	s_delay_alu instid0(VALU_DEP_1) | instskip(SKIP_1) | instid1(VALU_DEP_4)
	v_mad_co_u64_u32 v[8:9], null, ttmp9, 3, v[1:2]
	v_mov_b32_e32 v9, v10
	v_dual_mov_b32 v1, v6 :: v_dual_mov_b32 v2, v7
	s_delay_alu instid0(VALU_DEP_2) | instskip(SKIP_2) | instid1(VALU_DEP_1)
	v_dual_mov_b32 v3, v8 :: v_dual_mov_b32 v4, v9
	s_wait_kmcnt 0x0
	v_cmp_lt_u64_e64 s2, s[10:11], 2
	s_and_b32 vcc_lo, exec_lo, s2
	s_cbranch_vccnz .LBB0_8
; %bb.1:
	s_load_b64 s[2:3], s[0:1], 0x10
	v_dual_mov_b32 v6, 0 :: v_dual_mov_b32 v13, v9
	v_dual_mov_b32 v7, 0 :: v_dual_mov_b32 v12, v8
	s_delay_alu instid0(VALU_DEP_2) | instskip(SKIP_2) | instid1(VALU_DEP_2)
	v_mov_b32_e32 v1, v6
	s_add_nc_u64 s[16:17], s[14:15], 8
	s_add_nc_u64 s[18:19], s[12:13], 8
	v_mov_b32_e32 v2, v7
	s_mov_b64 s[20:21], 1
	s_wait_kmcnt 0x0
	s_add_nc_u64 s[22:23], s[2:3], 8
	s_mov_b32 s3, 0
.LBB0_2:                                ; =>This Inner Loop Header: Depth=1
	s_load_b64 s[24:25], s[22:23], 0x0
                                        ; implicit-def: $vgpr3_vgpr4
	s_mov_b32 s2, exec_lo
	s_wait_kmcnt 0x0
	v_or_b32_e32 v11, s25, v13
	s_delay_alu instid0(VALU_DEP_1)
	v_cmpx_ne_u64_e32 0, v[10:11]
	s_wait_alu 0xfffe
	s_xor_b32 s26, exec_lo, s2
	s_cbranch_execz .LBB0_4
; %bb.3:                                ;   in Loop: Header=BB0_2 Depth=1
	s_cvt_f32_u32 s2, s24
	s_cvt_f32_u32 s27, s25
	s_sub_nc_u64 s[30:31], 0, s[24:25]
	s_wait_alu 0xfffe
	s_delay_alu instid0(SALU_CYCLE_1) | instskip(SKIP_1) | instid1(SALU_CYCLE_2)
	s_fmamk_f32 s2, s27, 0x4f800000, s2
	s_wait_alu 0xfffe
	v_s_rcp_f32 s2, s2
	s_delay_alu instid0(TRANS32_DEP_1) | instskip(SKIP_1) | instid1(SALU_CYCLE_2)
	s_mul_f32 s2, s2, 0x5f7ffffc
	s_wait_alu 0xfffe
	s_mul_f32 s27, s2, 0x2f800000
	s_wait_alu 0xfffe
	s_delay_alu instid0(SALU_CYCLE_2) | instskip(SKIP_1) | instid1(SALU_CYCLE_2)
	s_trunc_f32 s27, s27
	s_wait_alu 0xfffe
	s_fmamk_f32 s2, s27, 0xcf800000, s2
	s_cvt_u32_f32 s29, s27
	s_wait_alu 0xfffe
	s_delay_alu instid0(SALU_CYCLE_1) | instskip(SKIP_1) | instid1(SALU_CYCLE_2)
	s_cvt_u32_f32 s28, s2
	s_wait_alu 0xfffe
	s_mul_u64 s[34:35], s[30:31], s[28:29]
	s_wait_alu 0xfffe
	s_mul_hi_u32 s37, s28, s35
	s_mul_i32 s36, s28, s35
	s_mul_hi_u32 s2, s28, s34
	s_mul_i32 s33, s29, s34
	s_wait_alu 0xfffe
	s_add_nc_u64 s[36:37], s[2:3], s[36:37]
	s_mul_hi_u32 s27, s29, s34
	s_mul_hi_u32 s38, s29, s35
	s_add_co_u32 s2, s36, s33
	s_wait_alu 0xfffe
	s_add_co_ci_u32 s2, s37, s27
	s_mul_i32 s34, s29, s35
	s_add_co_ci_u32 s35, s38, 0
	s_wait_alu 0xfffe
	s_add_nc_u64 s[34:35], s[2:3], s[34:35]
	s_wait_alu 0xfffe
	v_add_co_u32 v3, s2, s28, s34
	s_delay_alu instid0(VALU_DEP_1) | instskip(SKIP_1) | instid1(VALU_DEP_1)
	s_cmp_lg_u32 s2, 0
	s_add_co_ci_u32 s29, s29, s35
	v_readfirstlane_b32 s28, v3
	s_wait_alu 0xfffe
	s_delay_alu instid0(VALU_DEP_1)
	s_mul_u64 s[30:31], s[30:31], s[28:29]
	s_wait_alu 0xfffe
	s_mul_hi_u32 s35, s28, s31
	s_mul_i32 s34, s28, s31
	s_mul_hi_u32 s2, s28, s30
	s_mul_i32 s33, s29, s30
	s_wait_alu 0xfffe
	s_add_nc_u64 s[34:35], s[2:3], s[34:35]
	s_mul_hi_u32 s27, s29, s30
	s_mul_hi_u32 s28, s29, s31
	s_wait_alu 0xfffe
	s_add_co_u32 s2, s34, s33
	s_add_co_ci_u32 s2, s35, s27
	s_mul_i32 s30, s29, s31
	s_add_co_ci_u32 s31, s28, 0
	s_wait_alu 0xfffe
	s_add_nc_u64 s[30:31], s[2:3], s[30:31]
	s_wait_alu 0xfffe
	v_add_co_u32 v5, s2, v3, s30
	s_delay_alu instid0(VALU_DEP_1) | instskip(SKIP_1) | instid1(VALU_DEP_1)
	s_cmp_lg_u32 s2, 0
	s_add_co_ci_u32 s2, s29, s31
	v_mul_hi_u32 v9, v12, v5
	s_wait_alu 0xfffe
	v_mad_co_u64_u32 v[3:4], null, v12, s2, 0
	v_mad_co_u64_u32 v[14:15], null, v13, v5, 0
	;; [unrolled: 1-line block ×3, first 2 shown]
	s_delay_alu instid0(VALU_DEP_3) | instskip(SKIP_1) | instid1(VALU_DEP_4)
	v_add_co_u32 v3, vcc_lo, v9, v3
	s_wait_alu 0xfffd
	v_add_co_ci_u32_e32 v4, vcc_lo, 0, v4, vcc_lo
	s_delay_alu instid0(VALU_DEP_2) | instskip(SKIP_1) | instid1(VALU_DEP_2)
	v_add_co_u32 v3, vcc_lo, v3, v14
	s_wait_alu 0xfffd
	v_add_co_ci_u32_e32 v3, vcc_lo, v4, v15, vcc_lo
	s_wait_alu 0xfffd
	v_add_co_ci_u32_e32 v4, vcc_lo, 0, v17, vcc_lo
	s_delay_alu instid0(VALU_DEP_2) | instskip(SKIP_1) | instid1(VALU_DEP_2)
	v_add_co_u32 v5, vcc_lo, v3, v16
	s_wait_alu 0xfffd
	v_add_co_ci_u32_e32 v9, vcc_lo, 0, v4, vcc_lo
	s_delay_alu instid0(VALU_DEP_2) | instskip(SKIP_1) | instid1(VALU_DEP_3)
	v_mul_lo_u32 v11, s25, v5
	v_mad_co_u64_u32 v[3:4], null, s24, v5, 0
	v_mul_lo_u32 v14, s24, v9
	s_delay_alu instid0(VALU_DEP_2) | instskip(NEXT) | instid1(VALU_DEP_2)
	v_sub_co_u32 v3, vcc_lo, v12, v3
	v_add3_u32 v4, v4, v14, v11
	s_delay_alu instid0(VALU_DEP_1) | instskip(SKIP_1) | instid1(VALU_DEP_1)
	v_sub_nc_u32_e32 v11, v13, v4
	s_wait_alu 0xfffd
	v_subrev_co_ci_u32_e64 v11, s2, s25, v11, vcc_lo
	v_add_co_u32 v14, s2, v5, 2
	s_wait_alu 0xf1ff
	v_add_co_ci_u32_e64 v15, s2, 0, v9, s2
	v_sub_co_u32 v16, s2, v3, s24
	v_sub_co_ci_u32_e32 v4, vcc_lo, v13, v4, vcc_lo
	s_wait_alu 0xf1ff
	v_subrev_co_ci_u32_e64 v11, s2, 0, v11, s2
	s_delay_alu instid0(VALU_DEP_3) | instskip(NEXT) | instid1(VALU_DEP_3)
	v_cmp_le_u32_e32 vcc_lo, s24, v16
	v_cmp_eq_u32_e64 s2, s25, v4
	s_wait_alu 0xfffd
	v_cndmask_b32_e64 v16, 0, -1, vcc_lo
	v_cmp_le_u32_e32 vcc_lo, s25, v11
	s_wait_alu 0xfffd
	v_cndmask_b32_e64 v17, 0, -1, vcc_lo
	v_cmp_le_u32_e32 vcc_lo, s24, v3
	;; [unrolled: 3-line block ×3, first 2 shown]
	s_wait_alu 0xfffd
	v_cndmask_b32_e64 v18, 0, -1, vcc_lo
	v_cmp_eq_u32_e32 vcc_lo, s25, v11
	s_wait_alu 0xf1ff
	s_delay_alu instid0(VALU_DEP_2)
	v_cndmask_b32_e64 v3, v18, v3, s2
	s_wait_alu 0xfffd
	v_cndmask_b32_e32 v11, v17, v16, vcc_lo
	v_add_co_u32 v16, vcc_lo, v5, 1
	s_wait_alu 0xfffd
	v_add_co_ci_u32_e32 v17, vcc_lo, 0, v9, vcc_lo
	s_delay_alu instid0(VALU_DEP_3) | instskip(SKIP_1) | instid1(VALU_DEP_2)
	v_cmp_ne_u32_e32 vcc_lo, 0, v11
	s_wait_alu 0xfffd
	v_dual_cndmask_b32 v4, v17, v15 :: v_dual_cndmask_b32 v11, v16, v14
	v_cmp_ne_u32_e32 vcc_lo, 0, v3
	s_wait_alu 0xfffd
	s_delay_alu instid0(VALU_DEP_2) | instskip(NEXT) | instid1(VALU_DEP_3)
	v_cndmask_b32_e32 v4, v9, v4, vcc_lo
	v_cndmask_b32_e32 v3, v5, v11, vcc_lo
.LBB0_4:                                ;   in Loop: Header=BB0_2 Depth=1
	s_wait_alu 0xfffe
	s_and_not1_saveexec_b32 s2, s26
	s_cbranch_execz .LBB0_6
; %bb.5:                                ;   in Loop: Header=BB0_2 Depth=1
	v_cvt_f32_u32_e32 v3, s24
	s_sub_co_i32 s26, 0, s24
	s_delay_alu instid0(VALU_DEP_1) | instskip(NEXT) | instid1(TRANS32_DEP_1)
	v_rcp_iflag_f32_e32 v3, v3
	v_mul_f32_e32 v3, 0x4f7ffffe, v3
	s_delay_alu instid0(VALU_DEP_1) | instskip(SKIP_1) | instid1(VALU_DEP_1)
	v_cvt_u32_f32_e32 v3, v3
	s_wait_alu 0xfffe
	v_mul_lo_u32 v4, s26, v3
	s_delay_alu instid0(VALU_DEP_1) | instskip(NEXT) | instid1(VALU_DEP_1)
	v_mul_hi_u32 v4, v3, v4
	v_add_nc_u32_e32 v3, v3, v4
	s_delay_alu instid0(VALU_DEP_1) | instskip(NEXT) | instid1(VALU_DEP_1)
	v_mul_hi_u32 v3, v12, v3
	v_mul_lo_u32 v4, v3, s24
	v_add_nc_u32_e32 v5, 1, v3
	s_delay_alu instid0(VALU_DEP_2) | instskip(NEXT) | instid1(VALU_DEP_1)
	v_sub_nc_u32_e32 v4, v12, v4
	v_subrev_nc_u32_e32 v9, s24, v4
	v_cmp_le_u32_e32 vcc_lo, s24, v4
	s_wait_alu 0xfffd
	s_delay_alu instid0(VALU_DEP_2) | instskip(SKIP_1) | instid1(VALU_DEP_2)
	v_cndmask_b32_e32 v4, v4, v9, vcc_lo
	v_cndmask_b32_e32 v3, v3, v5, vcc_lo
	v_cmp_le_u32_e32 vcc_lo, s24, v4
	s_delay_alu instid0(VALU_DEP_2) | instskip(SKIP_1) | instid1(VALU_DEP_1)
	v_dual_mov_b32 v4, v10 :: v_dual_add_nc_u32 v5, 1, v3
	s_wait_alu 0xfffd
	v_cndmask_b32_e32 v3, v3, v5, vcc_lo
.LBB0_6:                                ;   in Loop: Header=BB0_2 Depth=1
	s_wait_alu 0xfffe
	s_or_b32 exec_lo, exec_lo, s2
	v_mul_lo_u32 v5, v4, s24
	s_delay_alu instid0(VALU_DEP_2)
	v_mul_lo_u32 v9, v3, s25
	s_load_b64 s[26:27], s[18:19], 0x0
	v_mad_co_u64_u32 v[14:15], null, v3, s24, 0
	s_load_b64 s[24:25], s[16:17], 0x0
	s_add_nc_u64 s[20:21], s[20:21], 1
	s_add_nc_u64 s[16:17], s[16:17], 8
	s_wait_alu 0xfffe
	v_cmp_ge_u64_e64 s2, s[20:21], s[10:11]
	s_add_nc_u64 s[18:19], s[18:19], 8
	s_add_nc_u64 s[22:23], s[22:23], 8
	v_add3_u32 v5, v15, v9, v5
	v_sub_co_u32 v9, vcc_lo, v12, v14
	s_wait_alu 0xfffd
	s_delay_alu instid0(VALU_DEP_2) | instskip(SKIP_2) | instid1(VALU_DEP_1)
	v_sub_co_ci_u32_e32 v5, vcc_lo, v13, v5, vcc_lo
	s_and_b32 vcc_lo, exec_lo, s2
	s_wait_kmcnt 0x0
	v_mul_lo_u32 v11, s26, v5
	v_mul_lo_u32 v12, s27, v9
	v_mad_co_u64_u32 v[6:7], null, s26, v9, v[6:7]
	v_mul_lo_u32 v5, s24, v5
	v_mul_lo_u32 v13, s25, v9
	v_mad_co_u64_u32 v[1:2], null, s24, v9, v[1:2]
	s_delay_alu instid0(VALU_DEP_4) | instskip(NEXT) | instid1(VALU_DEP_2)
	v_add3_u32 v7, v12, v7, v11
	v_add3_u32 v2, v13, v2, v5
	s_wait_alu 0xfffe
	s_cbranch_vccnz .LBB0_8
; %bb.7:                                ;   in Loop: Header=BB0_2 Depth=1
	v_dual_mov_b32 v13, v4 :: v_dual_mov_b32 v12, v3
	s_branch .LBB0_2
.LBB0_8:
	s_load_b64 s[0:1], s[0:1], 0x28
	v_mul_hi_u32 v5, 0xaaaaaaab, v8
	v_mul_hi_u32 v10, 0xccccccd, v0
	s_lshl_b64 s[10:11], s[10:11], 3
	s_wait_alu 0xfffe
	s_add_nc_u64 s[2:3], s[14:15], s[10:11]
	s_delay_alu instid0(VALU_DEP_2) | instskip(NEXT) | instid1(VALU_DEP_1)
	v_lshrrev_b32_e32 v5, 1, v5
	v_lshl_add_u32 v5, v5, 1, v5
	s_delay_alu instid0(VALU_DEP_1) | instskip(SKIP_3) | instid1(VALU_DEP_1)
	v_sub_nc_u32_e32 v11, v8, v5
	s_wait_kmcnt 0x0
	v_cmp_gt_u64_e32 vcc_lo, s[0:1], v[3:4]
	v_cmp_le_u64_e64 s0, s[0:1], v[3:4]
                                        ; implicit-def: $vgpr5
                                        ; implicit-def: $vgpr8_vgpr9
	s_and_saveexec_b32 s1, s0
	s_wait_alu 0xfffe
	s_xor_b32 s0, exec_lo, s1
; %bb.9:
	v_mul_u32_u24_e32 v5, 20, v10
	v_mov_b32_e32 v6, 0
                                        ; implicit-def: $vgpr10
	s_delay_alu instid0(VALU_DEP_2) | instskip(NEXT) | instid1(VALU_DEP_2)
	v_sub_nc_u32_e32 v5, v0, v5
	v_mov_b32_e32 v9, v6
                                        ; implicit-def: $vgpr0
	s_delay_alu instid0(VALU_DEP_2)
	v_mov_b32_e32 v8, v5
                                        ; implicit-def: $vgpr6_vgpr7
; %bb.10:
	s_wait_alu 0xfffe
	s_or_saveexec_b32 s1, s0
	s_load_b64 s[2:3], s[2:3], 0x0
	v_mul_u32_u24_e32 v13, 0xc9, v11
	s_delay_alu instid0(VALU_DEP_1)
	v_lshlrev_b32_e32 v12, 2, v13
	s_xor_b32 exec_lo, exec_lo, s1
	s_cbranch_execz .LBB0_14
; %bb.11:
	s_add_nc_u64 s[10:11], s[12:13], s[10:11]
	v_lshlrev_b64_e32 v[6:7], 2, v[6:7]
	s_load_b64 s[10:11], s[10:11], 0x0
	s_wait_kmcnt 0x0
	v_mul_lo_u32 v5, s11, v3
	v_mul_lo_u32 v11, s10, v4
	v_mad_co_u64_u32 v[8:9], null, s10, v3, 0
	s_delay_alu instid0(VALU_DEP_1) | instskip(SKIP_1) | instid1(VALU_DEP_2)
	v_add3_u32 v9, v9, v11, v5
	v_mul_u32_u24_e32 v5, 20, v10
	v_lshlrev_b64_e32 v[8:9], 2, v[8:9]
	s_delay_alu instid0(VALU_DEP_2) | instskip(NEXT) | instid1(VALU_DEP_2)
	v_sub_nc_u32_e32 v5, v0, v5
	v_add_co_u32 v0, s0, s4, v8
	s_wait_alu 0xf1ff
	s_delay_alu instid0(VALU_DEP_3) | instskip(NEXT) | instid1(VALU_DEP_3)
	v_add_co_ci_u32_e64 v8, s0, s5, v9, s0
	v_lshlrev_b32_e32 v9, 2, v5
	s_delay_alu instid0(VALU_DEP_3) | instskip(SKIP_1) | instid1(VALU_DEP_3)
	v_add_co_u32 v10, s0, v0, v6
	s_wait_alu 0xf1ff
	v_add_co_ci_u32_e64 v11, s0, v8, v7, s0
	s_mov_b32 s4, exec_lo
	s_delay_alu instid0(VALU_DEP_2) | instskip(SKIP_1) | instid1(VALU_DEP_2)
	v_add_co_u32 v6, s0, v10, v9
	s_wait_alu 0xf1ff
	v_add_co_ci_u32_e64 v7, s0, 0, v11, s0
	s_clause 0x9
	global_load_b32 v14, v[6:7], off
	global_load_b32 v15, v[6:7], off offset:80
	global_load_b32 v16, v[6:7], off offset:160
	;; [unrolled: 1-line block ×9, first 2 shown]
	v_mov_b32_e32 v6, 0
	v_add3_u32 v0, 0, v12, v9
	s_wait_loadcnt 0x8
	ds_store_2addr_b32 v0, v14, v15 offset1:20
	s_wait_loadcnt 0x6
	ds_store_2addr_b32 v0, v16, v17 offset0:40 offset1:60
	s_wait_loadcnt 0x4
	ds_store_2addr_b32 v0, v18, v19 offset0:80 offset1:100
	s_wait_loadcnt 0x2
	ds_store_2addr_b32 v0, v20, v21 offset0:120 offset1:140
	s_wait_loadcnt 0x0
	ds_store_2addr_b32 v0, v22, v7 offset0:160 offset1:180
	v_dual_mov_b32 v9, v6 :: v_dual_mov_b32 v8, v5
	v_cmpx_eq_u32_e32 19, v5
	s_cbranch_execz .LBB0_13
; %bb.12:
	global_load_b32 v6, v[10:11], off offset:800
	v_dual_mov_b32 v8, 19 :: v_dual_mov_b32 v5, 19
	v_mov_b32_e32 v9, 0
	s_wait_loadcnt 0x0
	ds_store_b32 v0, v6 offset:724
.LBB0_13:
	s_wait_alu 0xfffe
	s_or_b32 exec_lo, exec_lo, s4
.LBB0_14:
	s_delay_alu instid0(SALU_CYCLE_1)
	s_or_b32 exec_lo, exec_lo, s1
	v_lshl_add_u32 v0, v13, 2, 0
	v_lshlrev_b32_e32 v13, 2, v5
	global_wb scope:SCOPE_SE
	s_wait_dscnt 0x0
	s_wait_kmcnt 0x0
	s_barrier_signal -1
	s_barrier_wait -1
	global_inv scope:SCOPE_SE
	v_add_nc_u32_e32 v11, v0, v13
	v_sub_nc_u32_e32 v14, v0, v13
	v_lshlrev_b64_e32 v[7:8], 2, v[8:9]
	s_mov_b32 s1, exec_lo
	ds_load_u16 v6, v11
	ds_load_u16 v10, v14 offset:800
	s_wait_dscnt 0x0
	v_add_f16_e32 v15, v10, v6
	v_sub_f16_e32 v16, v6, v10
	v_cmpx_ne_u32_e32 0, v5
	s_wait_alu 0xfffe
	s_xor_b32 s1, exec_lo, s1
	s_cbranch_execz .LBB0_16
; %bb.15:
	v_add_co_u32 v15, s0, s8, v7
	s_wait_alu 0xf1ff
	v_add_co_ci_u32_e64 v16, s0, s9, v8, s0
	v_add_f16_e32 v17, v10, v6
	v_sub_f16_e32 v6, v6, v10
	global_load_b32 v9, v[15:16], off offset:760
	ds_load_u16 v15, v14 offset:802
	ds_load_u16 v16, v11 offset:2
	s_wait_dscnt 0x0
	v_add_f16_e32 v10, v15, v16
	v_sub_f16_e32 v15, v16, v15
	s_wait_loadcnt 0x0
	v_lshrrev_b32_e32 v18, 16, v9
	s_delay_alu instid0(VALU_DEP_1) | instskip(NEXT) | instid1(VALU_DEP_3)
	v_fma_f16 v19, -v6, v18, v17
	v_fma_f16 v20, v10, v18, -v15
	v_fma_f16 v17, v6, v18, v17
	v_fma_f16 v16, v10, v18, v15
	s_delay_alu instid0(VALU_DEP_4) | instskip(NEXT) | instid1(VALU_DEP_4)
	v_fmac_f16_e32 v19, v9, v10
	v_fmac_f16_e32 v20, v6, v9
	s_delay_alu instid0(VALU_DEP_4) | instskip(NEXT) | instid1(VALU_DEP_4)
	v_fma_f16 v15, -v9, v10, v17
	v_fmac_f16_e32 v16, v6, v9
	s_delay_alu instid0(VALU_DEP_3)
	v_pack_b32_f16 v10, v19, v20
	ds_store_b32 v14, v10 offset:800
.LBB0_16:
	s_wait_alu 0xfffe
	s_and_not1_saveexec_b32 s0, s1
	s_cbranch_execz .LBB0_18
; %bb.17:
	ds_load_b32 v6, v0 offset:400
	s_wait_dscnt 0x0
	v_pk_mul_f16 v6, 0xc0004000, v6
	ds_store_b32 v0, v6 offset:400
.LBB0_18:
	s_wait_alu 0xfffe
	s_or_b32 exec_lo, exec_lo, s0
	v_mov_b32_e32 v6, 0
	s_add_nc_u64 s[0:1], s[8:9], 0x2f8
	v_perm_b32 v15, v16, v15, 0x5040100
	v_add3_u32 v13, 0, v13, v12
	s_delay_alu instid0(VALU_DEP_3) | instskip(SKIP_1) | instid1(VALU_DEP_1)
	v_lshlrev_b64_e32 v[9:10], 2, v[5:6]
	s_wait_alu 0xfffe
	v_add_co_u32 v17, s0, s0, v9
	s_wait_alu 0xf1ff
	s_delay_alu instid0(VALU_DEP_2)
	v_add_co_ci_u32_e64 v18, s0, s1, v10, s0
	v_cmp_gt_u32_e64 s0, 10, v5
	s_clause 0x3
	global_load_b32 v19, v[17:18], off offset:80
	global_load_b32 v20, v[17:18], off offset:160
	;; [unrolled: 1-line block ×4, first 2 shown]
	ds_store_b32 v11, v15
	ds_load_b32 v15, v11 offset:80
	ds_load_b32 v16, v14 offset:720
	s_wait_dscnt 0x1
	v_lshrrev_b32_e32 v18, 16, v15
	s_wait_dscnt 0x0
	v_lshrrev_b32_e32 v22, 16, v16
	v_add_f16_e32 v23, v15, v16
	v_sub_f16_e32 v15, v15, v16
	s_delay_alu instid0(VALU_DEP_3) | instskip(SKIP_3) | instid1(VALU_DEP_1)
	v_add_f16_e32 v16, v22, v18
	v_sub_f16_e32 v18, v18, v22
	s_wait_loadcnt 0x3
	v_lshrrev_b32_e32 v24, 16, v19
	v_fma_f16 v22, v15, v24, v23
	s_delay_alu instid0(VALU_DEP_3) | instskip(SKIP_2) | instid1(VALU_DEP_4)
	v_fma_f16 v25, v16, v24, v18
	v_fma_f16 v23, -v15, v24, v23
	v_fma_f16 v18, v16, v24, -v18
	v_fma_f16 v22, -v19, v16, v22
	s_delay_alu instid0(VALU_DEP_4) | instskip(NEXT) | instid1(VALU_DEP_4)
	v_fmac_f16_e32 v25, v15, v19
	v_fmac_f16_e32 v23, v19, v16
	s_delay_alu instid0(VALU_DEP_4) | instskip(NEXT) | instid1(VALU_DEP_3)
	v_fmac_f16_e32 v18, v15, v19
	v_pack_b32_f16 v15, v22, v25
	s_wait_loadcnt 0x2
	v_lshrrev_b32_e32 v22, 16, v20
	s_delay_alu instid0(VALU_DEP_3)
	v_pack_b32_f16 v16, v23, v18
	ds_store_b32 v11, v15 offset:80
	ds_store_b32 v14, v16 offset:720
	ds_load_b32 v15, v11 offset:160
	ds_load_b32 v16, v14 offset:640
	s_wait_dscnt 0x1
	v_lshrrev_b32_e32 v18, 16, v15
	s_wait_dscnt 0x0
	v_lshrrev_b32_e32 v19, 16, v16
	v_add_f16_e32 v23, v15, v16
	v_sub_f16_e32 v15, v15, v16
	s_delay_alu instid0(VALU_DEP_3) | instskip(SKIP_1) | instid1(VALU_DEP_3)
	v_add_f16_e32 v16, v19, v18
	v_sub_f16_e32 v18, v18, v19
	v_fma_f16 v19, v15, v22, v23
	v_fma_f16 v23, -v15, v22, v23
	s_delay_alu instid0(VALU_DEP_3) | instskip(SKIP_1) | instid1(VALU_DEP_4)
	v_fma_f16 v24, v16, v22, v18
	v_fma_f16 v18, v16, v22, -v18
	v_fma_f16 v19, -v20, v16, v19
	s_delay_alu instid0(VALU_DEP_4) | instskip(NEXT) | instid1(VALU_DEP_4)
	v_fmac_f16_e32 v23, v20, v16
	v_fmac_f16_e32 v24, v15, v20
	s_delay_alu instid0(VALU_DEP_4) | instskip(SKIP_2) | instid1(VALU_DEP_3)
	v_fmac_f16_e32 v18, v15, v20
	s_wait_loadcnt 0x1
	v_lshrrev_b32_e32 v20, 16, v21
	v_pack_b32_f16 v15, v19, v24
	s_delay_alu instid0(VALU_DEP_3)
	v_pack_b32_f16 v16, v23, v18
	ds_store_b32 v11, v15 offset:160
	ds_store_b32 v14, v16 offset:640
	ds_load_b32 v15, v11 offset:240
	ds_load_b32 v16, v14 offset:560
	s_wait_dscnt 0x1
	v_lshrrev_b32_e32 v18, 16, v15
	s_wait_dscnt 0x0
	v_lshrrev_b32_e32 v19, 16, v16
	v_add_f16_e32 v22, v15, v16
	v_sub_f16_e32 v15, v15, v16
	s_delay_alu instid0(VALU_DEP_3) | instskip(SKIP_1) | instid1(VALU_DEP_3)
	v_add_f16_e32 v16, v19, v18
	v_sub_f16_e32 v18, v18, v19
	v_fma_f16 v19, v15, v20, v22
	v_fma_f16 v22, -v15, v20, v22
	s_delay_alu instid0(VALU_DEP_3) | instskip(SKIP_1) | instid1(VALU_DEP_4)
	v_fma_f16 v23, v16, v20, v18
	v_fma_f16 v18, v16, v20, -v18
	v_fma_f16 v19, -v21, v16, v19
	s_delay_alu instid0(VALU_DEP_4) | instskip(SKIP_4) | instid1(VALU_DEP_2)
	v_fmac_f16_e32 v22, v21, v16
	s_wait_loadcnt 0x0
	v_lshrrev_b32_e32 v20, 16, v17
	v_fmac_f16_e32 v23, v15, v21
	v_fmac_f16_e32 v18, v15, v21
	v_pack_b32_f16 v15, v19, v23
	s_delay_alu instid0(VALU_DEP_2)
	v_pack_b32_f16 v16, v22, v18
	ds_store_b32 v11, v15 offset:240
	ds_store_b32 v14, v16 offset:560
	ds_load_b32 v15, v11 offset:320
	ds_load_b32 v16, v14 offset:480
	s_wait_dscnt 0x1
	v_lshrrev_b32_e32 v18, 16, v15
	s_wait_dscnt 0x0
	v_lshrrev_b32_e32 v19, 16, v16
	v_add_f16_e32 v21, v15, v16
	v_sub_f16_e32 v15, v15, v16
	s_delay_alu instid0(VALU_DEP_3) | instskip(SKIP_1) | instid1(VALU_DEP_3)
	v_add_f16_e32 v16, v19, v18
	v_sub_f16_e32 v18, v18, v19
	v_fma_f16 v19, v15, v20, v21
	v_fma_f16 v21, -v15, v20, v21
	s_delay_alu instid0(VALU_DEP_3)
	v_fma_f16 v22, v16, v20, v18
	v_fma_f16 v18, v16, v20, -v18
	v_add_nc_u32_e32 v20, -10, v5
	v_fma_f16 v19, -v17, v16, v19
	v_fmac_f16_e32 v21, v17, v16
	v_fmac_f16_e32 v22, v15, v17
	;; [unrolled: 1-line block ×3, first 2 shown]
	s_wait_alu 0xf1ff
	v_cndmask_b32_e64 v31, v20, v5, s0
	v_mov_b32_e32 v16, v6
	v_pack_b32_f16 v17, v19, v22
	v_pack_b32_f16 v18, v21, v18
	s_delay_alu instid0(VALU_DEP_4)
	v_mul_i32_i24_e32 v15, 9, v31
	v_lshlrev_b32_e32 v31, 2, v31
	ds_store_b32 v11, v17 offset:320
	ds_store_b32 v14, v18 offset:480
	global_wb scope:SCOPE_SE
	s_wait_dscnt 0x0
	v_lshlrev_b64_e32 v[15:16], 2, v[15:16]
	s_barrier_signal -1
	s_barrier_wait -1
	global_inv scope:SCOPE_SE
	global_wb scope:SCOPE_SE
	s_barrier_signal -1
	s_barrier_wait -1
	global_inv scope:SCOPE_SE
	ds_load_2addr_b32 v[17:18], v13 offset0:60 offset1:80
	ds_load_2addr_b32 v[19:20], v13 offset0:100 offset1:120
	;; [unrolled: 1-line block ×4, first 2 shown]
	ds_load_b32 v27, v11
	v_add_co_u32 v25, s0, s8, v15
	ds_load_b32 v15, v13 offset:720
	s_wait_alu 0xf1ff
	v_add_co_ci_u32_e64 v26, s0, s9, v16, s0
	v_mad_u32_u24 v14, v5, 36, v13
	global_wb scope:SCOPE_SE
	s_wait_dscnt 0x0
	s_barrier_signal -1
	s_barrier_wait -1
	global_inv scope:SCOPE_SE
	v_cmp_lt_u32_e64 s0, 9, v5
	v_lshrrev_b32_e32 v30, 16, v18
	v_add_f16_e32 v16, v18, v20
	v_lshrrev_b32_e32 v28, 16, v22
	v_lshrrev_b32_e32 v29, 16, v24
	v_lshrrev_b32_e32 v32, 16, v20
	v_sub_f16_e32 v33, v24, v20
	v_sub_f16_e32 v34, v22, v18
	v_add_f16_e32 v35, v22, v24
	v_sub_f16_e32 v36, v20, v24
	v_sub_f16_e32 v37, v18, v22
	v_pk_add_f16 v38, v27, v22
	v_add_f16_e32 v41, v19, v23
	v_lshrrev_b32_e32 v44, 16, v19
	v_lshrrev_b32_e32 v45, 16, v23
	v_add_f16_e32 v48, v17, v15
	v_pk_add_f16 v51, v21, v17
	v_lshrrev_b32_e32 v42, 16, v17
	v_lshrrev_b32_e32 v43, 16, v15
	;; [unrolled: 1-line block ×3, first 2 shown]
	v_sub_f16_e32 v40, v18, v20
	v_sub_f16_e32 v47, v17, v19
	;; [unrolled: 1-line block ×3, first 2 shown]
	v_lshrrev_b32_e32 v52, 16, v21
	v_sub_f16_e32 v53, v19, v23
	v_fma_f16 v16, -0.5, v16, v27
	v_sub_f16_e32 v54, v28, v29
	v_sub_f16_e32 v55, v30, v32
	v_add_f16_e32 v33, v34, v33
	v_fma_f16 v27, -0.5, v35, v27
	v_add_f16_e32 v34, v37, v36
	v_pk_add_f16 v18, v38, v18
	v_add_f16_e32 v35, v30, v32
	v_sub_f16_e32 v36, v28, v30
	v_add_f16_e32 v38, v28, v29
	v_sub_f16_e32 v28, v30, v28
	v_fma_f16 v30, -0.5, v41, v21
	v_fma_f16 v21, -0.5, v48, v21
	v_pk_add_f16 v19, v51, v19
	v_add_f16_e32 v48, v44, v45
	v_sub_f16_e32 v37, v29, v32
	v_sub_f16_e32 v29, v32, v29
	;; [unrolled: 1-line block ×4, first 2 shown]
	v_add_f16_e32 v51, v42, v43
	v_sub_f16_e32 v46, v15, v23
	v_sub_f16_e32 v49, v23, v15
	;; [unrolled: 1-line block ×3, first 2 shown]
	v_pk_add_f16 v19, v19, v23
	v_fma_f16 v23, -0.5, v48, v52
	v_pk_add_f16 v18, v18, v20
	v_fma_f16 v20, -0.5, v35, v39
	v_add_f16_e32 v35, v36, v37
	v_add_f16_e32 v28, v28, v29
	v_fmamk_f16 v29, v32, 0xbb9c, v30
	v_fmamk_f16 v36, v41, 0x3b9c, v21
	v_fmac_f16_e32 v21, 0xbb9c, v41
	v_fmac_f16_e32 v52, -0.5, v51
	v_add_f16_e32 v46, v47, v46
	v_add_f16_e32 v47, v50, v49
	v_sub_f16_e32 v49, v42, v44
	v_sub_f16_e32 v50, v43, v45
	v_pk_add_f16 v15, v19, v15
	v_fmamk_f16 v19, v17, 0x3b9c, v23
	v_sub_f16_e32 v42, v44, v42
	v_sub_f16_e32 v43, v45, v43
	v_fmac_f16_e32 v39, -0.5, v38
	v_fmac_f16_e32 v30, 0x3b9c, v32
	v_fmac_f16_e32 v29, 0xb8b4, v41
	;; [unrolled: 1-line block ×4, first 2 shown]
	v_fmamk_f16 v32, v53, 0xbb9c, v52
	v_fmac_f16_e32 v52, 0x3b9c, v53
	v_fmac_f16_e32 v23, 0xbb9c, v17
	v_sub_f16_e32 v22, v22, v24
	v_add_f16_e32 v37, v49, v50
	v_fmac_f16_e32 v19, 0x38b4, v53
	v_fmamk_f16 v44, v54, 0xbb9c, v16
	v_fmac_f16_e32 v16, 0x3b9c, v54
	v_add_f16_e32 v38, v42, v43
	v_pk_add_f16 v18, v18, v24
	v_fmamk_f16 v42, v40, 0xbb9c, v39
	v_fmac_f16_e32 v39, 0x3b9c, v40
	v_fmac_f16_e32 v29, 0x34f2, v46
	;; [unrolled: 1-line block ×4, first 2 shown]
	v_fmamk_f16 v45, v55, 0x3b9c, v27
	v_fmac_f16_e32 v27, 0xbb9c, v55
	v_fmac_f16_e32 v23, 0xb8b4, v53
	v_fmamk_f16 v24, v22, 0x3b9c, v20
	v_fmac_f16_e32 v19, 0x34f2, v37
	v_fmac_f16_e32 v44, 0xb8b4, v55
	;; [unrolled: 1-line block ×5, first 2 shown]
	v_pk_add_f16 v17, v18, v15
	v_pk_add_f16 v15, v18, v15 neg_lo:[0,1] neg_hi:[0,1]
	v_fmac_f16_e32 v32, 0x34f2, v38
	v_fmac_f16_e32 v52, 0x34f2, v38
	v_mul_f16_e32 v18, 0x38b4, v29
	v_fmac_f16_e32 v45, 0xb8b4, v54
	v_fmac_f16_e32 v27, 0x38b4, v54
	;; [unrolled: 1-line block ×6, first 2 shown]
	v_mul_f16_e32 v22, 0xb8b4, v19
	v_fmac_f16_e32 v44, 0x34f2, v33
	v_fmac_f16_e32 v16, 0x34f2, v33
	;; [unrolled: 1-line block ×6, first 2 shown]
	v_mul_f16_e32 v28, 0xbb9c, v32
	v_mul_f16_e32 v33, 0xbb9c, v52
	v_fmac_f16_e32 v18, 0x3a79, v19
	v_mul_f16_e32 v19, 0x34f2, v32
	v_mul_f16_e32 v32, 0xb4f2, v52
	v_fmac_f16_e32 v45, 0x34f2, v34
	v_fmac_f16_e32 v27, 0x34f2, v34
	;; [unrolled: 1-line block ×4, first 2 shown]
	v_mul_f16_e32 v34, 0xb8b4, v23
	v_mul_f16_e32 v23, 0xba79, v23
	v_fmac_f16_e32 v24, 0x34f2, v35
	v_fmac_f16_e32 v22, 0x3a79, v29
	;; [unrolled: 1-line block ×9, first 2 shown]
	v_add_f16_e32 v29, v24, v18
	v_add_f16_e32 v21, v44, v22
	v_sub_f16_e32 v18, v24, v18
	v_add_f16_e32 v24, v45, v28
	v_add_f16_e32 v30, v27, v33
	;; [unrolled: 1-line block ×6, first 2 shown]
	v_sub_f16_e32 v22, v44, v22
	v_sub_f16_e32 v28, v45, v28
	;; [unrolled: 1-line block ×7, first 2 shown]
	v_pack_b32_f16 v21, v21, v29
	v_pack_b32_f16 v23, v30, v37
	;; [unrolled: 1-line block ×8, first 2 shown]
	ds_store_2addr_b32 v14, v17, v21 offset1:1
	ds_store_2addr_b32 v14, v24, v23 offset0:2 offset1:3
	ds_store_2addr_b32 v14, v29, v15 offset0:4 offset1:5
	;; [unrolled: 1-line block ×4, first 2 shown]
	global_wb scope:SCOPE_SE
	s_wait_dscnt 0x0
	s_barrier_signal -1
	s_barrier_wait -1
	global_inv scope:SCOPE_SE
	s_clause 0x2
	global_load_b128 v[15:18], v[25:26], off
	global_load_b128 v[19:22], v[25:26], off offset:16
	global_load_b32 v32, v[25:26], off offset:32
	ds_load_2addr_b32 v[23:24], v13 offset0:20 offset1:40
	ds_load_b32 v34, v11
	ds_load_2addr_b32 v[25:26], v13 offset0:100 offset1:120
	ds_load_2addr_b32 v[27:28], v13 offset0:140 offset1:160
	;; [unrolled: 1-line block ×3, first 2 shown]
	ds_load_b32 v35, v13 offset:720
	s_wait_alu 0xf1ff
	v_cndmask_b32_e64 v33, 0, 0x190, s0
	v_add_co_u32 v7, s0, s8, v7
	s_wait_alu 0xf1ff
	v_add_co_ci_u32_e64 v8, s0, s9, v8, s0
	s_delay_alu instid0(VALU_DEP_3) | instskip(SKIP_3) | instid1(VALU_DEP_3)
	v_add_nc_u32_e32 v33, 0, v33
	v_add_co_u32 v9, s0, s8, v9
	s_wait_alu 0xf1ff
	v_add_co_ci_u32_e64 v10, s0, s9, v10, s0
	v_add3_u32 v12, v33, v31, v12
	global_wb scope:SCOPE_SE
	s_wait_loadcnt_dscnt 0x0
	s_barrier_signal -1
	s_barrier_wait -1
	v_lshrrev_b32_e32 v39, 16, v23
	v_lshrrev_b32_e32 v40, 16, v24
	;; [unrolled: 1-line block ×10, first 2 shown]
	global_inv scope:SCOPE_SE
	v_lshrrev_b32_e32 v44, 16, v15
	v_lshrrev_b32_e32 v45, 16, v16
	;; [unrolled: 1-line block ×9, first 2 shown]
	v_mul_f16_e32 v53, v44, v39
	v_mul_f16_e32 v44, v44, v23
	;; [unrolled: 1-line block ×18, first 2 shown]
	v_fmac_f16_e32 v53, v15, v23
	v_fma_f16 v15, v15, v39, -v44
	v_fmac_f16_e32 v54, v16, v24
	v_fma_f16 v16, v16, v40, -v45
	;; [unrolled: 2-line block ×8, first 2 shown]
	v_fma_f16 v23, v38, v32, -v52
	v_fmac_f16_e32 v61, v35, v32
	v_add_f16_e32 v24, v34, v54
	v_sub_f16_e32 v28, v54, v56
	v_sub_f16_e32 v29, v60, v58
	v_add_f16_e32 v30, v54, v60
	v_sub_f16_e32 v32, v56, v54
	v_sub_f16_e32 v33, v58, v60
	;; [unrolled: 1-line block ×5, first 2 shown]
	v_add_f16_e32 v52, v15, v17
	v_add_f16_e32 v54, v19, v21
	;; [unrolled: 1-line block ×6, first 2 shown]
	v_sub_f16_e32 v45, v17, v23
	v_sub_f16_e32 v46, v19, v21
	;; [unrolled: 1-line block ×3, first 2 shown]
	v_add_f16_e32 v49, v55, v61
	v_sub_f16_e32 v50, v57, v55
	v_sub_f16_e32 v55, v55, v61
	;; [unrolled: 1-line block ×4, first 2 shown]
	v_add_f16_e32 v28, v28, v29
	v_add_f16_e32 v29, v32, v33
	;; [unrolled: 1-line block ×4, first 2 shown]
	v_fma_f16 v40, -0.5, v54, v15
	v_add_f16_e32 v25, v56, v58
	v_add_f16_e32 v36, v18, v20
	;; [unrolled: 1-line block ×3, first 2 shown]
	v_sub_f16_e32 v62, v57, v59
	v_fmac_f16_e32 v15, -0.5, v65
	v_sub_f16_e32 v26, v16, v22
	v_sub_f16_e32 v27, v18, v20
	;; [unrolled: 1-line block ×6, first 2 shown]
	v_add_f16_e32 v18, v35, v18
	v_fma_f16 v35, -0.5, v44, v53
	v_add_f16_e32 v19, v19, v21
	v_fmamk_f16 v21, v55, 0x3b9c, v40
	v_sub_f16_e32 v38, v56, v58
	v_add_f16_e32 v24, v24, v56
	v_fma_f16 v25, -0.5, v25, v34
	v_fmac_f16_e32 v34, -0.5, v30
	v_fma_f16 v30, -0.5, v36, v31
	v_fmac_f16_e32 v31, -0.5, v41
	v_add_f16_e32 v33, v43, v57
	v_fmac_f16_e32 v53, -0.5, v49
	v_fmamk_f16 v49, v62, 0xbb9c, v15
	v_fmac_f16_e32 v15, 0x3b9c, v62
	v_sub_f16_e32 v42, v20, v22
	v_fmac_f16_e32 v40, 0xbb9c, v55
	v_add_f16_e32 v36, v47, v48
	v_add_f16_e32 v41, v63, v64
	;; [unrolled: 1-line block ×3, first 2 shown]
	v_fmamk_f16 v47, v45, 0xbb9c, v35
	v_fmac_f16_e32 v21, 0x38b4, v62
	v_sub_f16_e32 v51, v59, v61
	v_add_f16_e32 v17, v17, v66
	v_add_f16_e32 v24, v24, v58
	v_fmamk_f16 v44, v38, 0xbb9c, v31
	v_fmac_f16_e32 v31, 0x3b9c, v38
	v_add_f16_e32 v33, v33, v59
	v_fmamk_f16 v48, v46, 0x3b9c, v53
	v_fmac_f16_e32 v53, 0xbb9c, v46
	v_fmac_f16_e32 v49, 0x38b4, v55
	;; [unrolled: 1-line block ×3, first 2 shown]
	v_add_f16_e32 v16, v16, v42
	v_fmamk_f16 v42, v26, 0xbb9c, v25
	v_fmac_f16_e32 v25, 0x3b9c, v26
	v_fmac_f16_e32 v35, 0x3b9c, v45
	v_fmac_f16_e32 v40, 0xb8b4, v62
	v_fmamk_f16 v20, v37, 0x3b9c, v30
	v_add_f16_e32 v18, v18, v22
	v_fmac_f16_e32 v47, 0xb8b4, v46
	v_add_f16_e32 v19, v19, v23
	v_fmac_f16_e32 v21, 0x34f2, v41
	v_add_f16_e32 v39, v50, v51
	v_fmamk_f16 v43, v27, 0x3b9c, v34
	v_fmac_f16_e32 v34, 0xbb9c, v27
	v_add_f16_e32 v24, v24, v60
	v_fmac_f16_e32 v44, 0x38b4, v37
	v_fmac_f16_e32 v31, 0xb8b4, v37
	v_add_f16_e32 v22, v33, v61
	v_fmac_f16_e32 v48, 0xb8b4, v45
	v_fmac_f16_e32 v53, 0x38b4, v45
	;; [unrolled: 1-line block ×11, first 2 shown]
	v_add_f16_e32 v17, v18, v19
	v_sub_f16_e32 v18, v18, v19
	v_mul_f16_e32 v19, 0xb8b4, v21
	v_mul_f16_e32 v21, 0x3a79, v21
	v_fmac_f16_e32 v43, 0xb8b4, v26
	v_fmac_f16_e32 v34, 0x38b4, v26
	;; [unrolled: 1-line block ×6, first 2 shown]
	v_add_f16_e32 v16, v24, v22
	v_sub_f16_e32 v22, v24, v22
	v_mul_f16_e32 v23, 0xbb9c, v49
	v_mul_f16_e32 v24, 0xbb9c, v15
	;; [unrolled: 1-line block ×4, first 2 shown]
	v_fmac_f16_e32 v30, 0xb8b4, v38
	v_fmac_f16_e32 v42, 0x34f2, v28
	;; [unrolled: 1-line block ×4, first 2 shown]
	v_mul_f16_e32 v26, 0xb8b4, v40
	v_mul_f16_e32 v28, 0xba79, v40
	v_fmac_f16_e32 v20, 0x34f2, v32
	v_fmac_f16_e32 v19, 0x3a79, v47
	;; [unrolled: 1-line block ×12, first 2 shown]
	v_pack_b32_f16 v16, v16, v17
	v_pack_b32_f16 v17, v22, v18
	v_add_f16_e32 v18, v42, v19
	v_add_f16_e32 v33, v20, v21
	;; [unrolled: 1-line block ×8, first 2 shown]
	v_sub_f16_e32 v19, v42, v19
	v_sub_f16_e32 v23, v43, v23
	;; [unrolled: 1-line block ×8, first 2 shown]
	v_pack_b32_f16 v18, v18, v33
	v_pack_b32_f16 v22, v22, v35
	;; [unrolled: 1-line block ×8, first 2 shown]
	ds_store_2addr_b32 v12, v16, v18 offset1:10
	ds_store_2addr_b32 v12, v22, v27 offset0:20 offset1:30
	ds_store_2addr_b32 v12, v28, v17 offset0:40 offset1:50
	;; [unrolled: 1-line block ×4, first 2 shown]
	global_wb scope:SCOPE_SE
	s_wait_dscnt 0x0
	s_barrier_signal -1
	s_barrier_wait -1
	global_inv scope:SCOPE_SE
	s_clause 0x4
	global_load_b32 v16, v[7:8], off offset:360
	global_load_b32 v17, v[9:10], off offset:440
	;; [unrolled: 1-line block ×5, first 2 shown]
	ds_load_2addr_b32 v[7:8], v13 offset0:100 offset1:120
	ds_load_2addr_b32 v[9:10], v13 offset0:140 offset1:160
	ds_load_b32 v21, v13 offset:720
	ds_load_b32 v22, v11
	v_mad_i32_i24 v23, 0xffffffdc, v5, v14
	ds_load_2addr_b32 v[11:12], v13 offset0:20 offset1:40
	ds_load_2addr_b32 v[14:15], v13 offset0:60 offset1:80
	global_wb scope:SCOPE_SE
	s_wait_loadcnt_dscnt 0x0
	s_barrier_signal -1
	s_barrier_wait -1
	global_inv scope:SCOPE_SE
	v_pk_mul_f16 v24, v16, v7 op_sel:[0,1]
	v_pk_mul_f16 v25, v17, v8 op_sel:[0,1]
	;; [unrolled: 1-line block ×5, first 2 shown]
	v_pk_fma_f16 v29, v16, v7, v24 op_sel:[0,0,1] op_sel_hi:[1,1,0]
	v_pk_fma_f16 v7, v16, v7, v24 op_sel:[0,0,1] op_sel_hi:[1,0,0] neg_lo:[1,0,0] neg_hi:[1,0,0]
	v_pk_fma_f16 v16, v17, v8, v25 op_sel:[0,0,1] op_sel_hi:[1,1,0]
	v_pk_fma_f16 v8, v17, v8, v25 op_sel:[0,0,1] op_sel_hi:[1,0,0] neg_lo:[1,0,0] neg_hi:[1,0,0]
	;; [unrolled: 2-line block ×5, first 2 shown]
	v_bfi_b32 v7, 0xffff, v29, v7
	v_bfi_b32 v8, 0xffff, v16, v8
	;; [unrolled: 1-line block ×5, first 2 shown]
	v_pk_add_f16 v7, v22, v7 neg_lo:[0,1] neg_hi:[0,1]
	v_pk_add_f16 v8, v11, v8 neg_lo:[0,1] neg_hi:[0,1]
	;; [unrolled: 1-line block ×5, first 2 shown]
	v_pk_fma_f16 v17, v22, 2.0, v7 op_sel_hi:[1,0,1] neg_lo:[0,0,1] neg_hi:[0,0,1]
	v_pk_fma_f16 v11, v11, 2.0, v8 op_sel_hi:[1,0,1] neg_lo:[0,0,1] neg_hi:[0,0,1]
	;; [unrolled: 1-line block ×5, first 2 shown]
	ds_store_b32 v13, v7 offset:400
	ds_store_2addr_b32 v13, v17, v11 offset1:20
	ds_store_b32 v23, v8 offset:480
	ds_store_b32 v13, v12 offset:160
	;; [unrolled: 1-line block ×7, first 2 shown]
	global_wb scope:SCOPE_SE
	s_wait_dscnt 0x0
	s_barrier_signal -1
	s_barrier_wait -1
	global_inv scope:SCOPE_SE
	s_and_saveexec_b32 s0, vcc_lo
	s_cbranch_execz .LBB0_20
; %bb.19:
	v_mul_lo_u32 v7, s3, v3
	v_mul_lo_u32 v8, s2, v4
	v_mad_co_u64_u32 v[3:4], null, s2, v3, 0
	v_lshl_add_u32 v29, v5, 2, v0
	v_lshlrev_b64_e32 v[0:1], 2, v[1:2]
	v_dual_mov_b32 v10, v6 :: v_dual_add_nc_u32 v9, 20, v5
	v_dual_mov_b32 v12, v6 :: v_dual_add_nc_u32 v11, 40, v5
	v_add3_u32 v4, v4, v8, v7
	v_lshlrev_b64_e32 v[7:8], 2, v[5:6]
	v_dual_mov_b32 v14, v6 :: v_dual_add_nc_u32 v13, 60, v5
	v_dual_mov_b32 v20, v6 :: v_dual_add_nc_u32 v19, 0x64, v5
	s_delay_alu instid0(VALU_DEP_4) | instskip(SKIP_1) | instid1(VALU_DEP_4)
	v_lshlrev_b64_e32 v[2:3], 2, v[3:4]
	v_dual_mov_b32 v22, v6 :: v_dual_add_nc_u32 v21, 0x78, v5
	v_lshlrev_b64_e32 v[13:14], 2, v[13:14]
	s_delay_alu instid0(VALU_DEP_4)
	v_lshlrev_b64_e32 v[19:20], 2, v[19:20]
	v_dual_mov_b32 v24, v6 :: v_dual_add_nc_u32 v23, 0x8c, v5
	v_add_co_u32 v4, vcc_lo, s6, v2
	s_wait_alu 0xfffd
	v_add_co_ci_u32_e32 v15, vcc_lo, s7, v3, vcc_lo
	v_mov_b32_e32 v16, v6
	s_delay_alu instid0(VALU_DEP_3) | instskip(SKIP_1) | instid1(VALU_DEP_3)
	v_add_co_u32 v31, vcc_lo, v4, v0
	s_wait_alu 0xfffd
	v_add_co_ci_u32_e32 v32, vcc_lo, v15, v1, vcc_lo
	v_lshlrev_b64_e32 v[0:1], 2, v[9:10]
	s_delay_alu instid0(VALU_DEP_3)
	v_add_co_u32 v7, vcc_lo, v31, v7
	v_lshlrev_b64_e32 v[9:10], 2, v[11:12]
	v_add_nc_u32_e32 v15, 0x50, v5
	s_wait_alu 0xfffd
	v_add_co_ci_u32_e32 v8, vcc_lo, v32, v8, vcc_lo
	v_add_co_u32 v0, vcc_lo, v31, v0
	s_wait_alu 0xfffd
	v_add_co_ci_u32_e32 v1, vcc_lo, v32, v1, vcc_lo
	v_add_co_u32 v9, vcc_lo, v31, v9
	v_lshlrev_b64_e32 v[15:16], 2, v[15:16]
	s_wait_alu 0xfffd
	v_add_co_ci_u32_e32 v10, vcc_lo, v32, v10, vcc_lo
	ds_load_2addr_b32 v[2:3], v29 offset1:20
	v_add_co_u32 v13, vcc_lo, v31, v13
	ds_load_2addr_b32 v[11:12], v29 offset0:40 offset1:60
	s_wait_alu 0xfffd
	v_add_co_ci_u32_e32 v14, vcc_lo, v32, v14, vcc_lo
	v_add_co_u32 v15, vcc_lo, v31, v15
	v_lshlrev_b64_e32 v[21:22], 2, v[21:22]
	ds_load_2addr_b32 v[17:18], v29 offset0:80 offset1:100
	v_dual_mov_b32 v28, v6 :: v_dual_add_nc_u32 v27, 0xa0, v5
	s_wait_alu 0xfffd
	v_add_co_ci_u32_e32 v16, vcc_lo, v32, v16, vcc_lo
	v_add_co_u32 v19, vcc_lo, v31, v19
	ds_load_2addr_b32 v[25:26], v29 offset0:120 offset1:140
	v_lshlrev_b64_e32 v[23:24], 2, v[23:24]
	v_add_nc_u32_e32 v5, 0xb4, v5
	s_wait_alu 0xfffd
	v_add_co_ci_u32_e32 v20, vcc_lo, v32, v20, vcc_lo
	ds_load_2addr_b32 v[29:30], v29 offset0:160 offset1:180
	v_add_co_u32 v21, vcc_lo, v31, v21
	v_lshlrev_b64_e32 v[27:28], 2, v[27:28]
	s_wait_alu 0xfffd
	v_add_co_ci_u32_e32 v22, vcc_lo, v32, v22, vcc_lo
	v_add_co_u32 v23, vcc_lo, v31, v23
	v_lshlrev_b64_e32 v[4:5], 2, v[5:6]
	s_wait_alu 0xfffd
	v_add_co_ci_u32_e32 v24, vcc_lo, v32, v24, vcc_lo
	v_add_co_u32 v27, vcc_lo, v31, v27
	s_wait_alu 0xfffd
	v_add_co_ci_u32_e32 v28, vcc_lo, v32, v28, vcc_lo
	v_add_co_u32 v4, vcc_lo, v31, v4
	s_wait_alu 0xfffd
	v_add_co_ci_u32_e32 v5, vcc_lo, v32, v5, vcc_lo
	s_wait_dscnt 0x4
	s_clause 0x1
	global_store_b32 v[7:8], v2, off
	global_store_b32 v[0:1], v3, off
	s_wait_dscnt 0x3
	s_clause 0x1
	global_store_b32 v[9:10], v11, off
	global_store_b32 v[13:14], v12, off
	;; [unrolled: 4-line block ×5, first 2 shown]
.LBB0_20:
	s_nop 0
	s_sendmsg sendmsg(MSG_DEALLOC_VGPRS)
	s_endpgm
	.section	.rodata,"a",@progbits
	.p2align	6, 0x0
	.amdhsa_kernel fft_rtc_back_len200_factors_10_10_2_wgs_60_tpt_20_halfLds_half_op_CI_CI_unitstride_sbrr_C2R_dirReg
		.amdhsa_group_segment_fixed_size 0
		.amdhsa_private_segment_fixed_size 0
		.amdhsa_kernarg_size 104
		.amdhsa_user_sgpr_count 2
		.amdhsa_user_sgpr_dispatch_ptr 0
		.amdhsa_user_sgpr_queue_ptr 0
		.amdhsa_user_sgpr_kernarg_segment_ptr 1
		.amdhsa_user_sgpr_dispatch_id 0
		.amdhsa_user_sgpr_private_segment_size 0
		.amdhsa_wavefront_size32 1
		.amdhsa_uses_dynamic_stack 0
		.amdhsa_enable_private_segment 0
		.amdhsa_system_sgpr_workgroup_id_x 1
		.amdhsa_system_sgpr_workgroup_id_y 0
		.amdhsa_system_sgpr_workgroup_id_z 0
		.amdhsa_system_sgpr_workgroup_info 0
		.amdhsa_system_vgpr_workitem_id 0
		.amdhsa_next_free_vgpr 67
		.amdhsa_next_free_sgpr 39
		.amdhsa_reserve_vcc 1
		.amdhsa_float_round_mode_32 0
		.amdhsa_float_round_mode_16_64 0
		.amdhsa_float_denorm_mode_32 3
		.amdhsa_float_denorm_mode_16_64 3
		.amdhsa_fp16_overflow 0
		.amdhsa_workgroup_processor_mode 1
		.amdhsa_memory_ordered 1
		.amdhsa_forward_progress 0
		.amdhsa_round_robin_scheduling 0
		.amdhsa_exception_fp_ieee_invalid_op 0
		.amdhsa_exception_fp_denorm_src 0
		.amdhsa_exception_fp_ieee_div_zero 0
		.amdhsa_exception_fp_ieee_overflow 0
		.amdhsa_exception_fp_ieee_underflow 0
		.amdhsa_exception_fp_ieee_inexact 0
		.amdhsa_exception_int_div_zero 0
	.end_amdhsa_kernel
	.text
.Lfunc_end0:
	.size	fft_rtc_back_len200_factors_10_10_2_wgs_60_tpt_20_halfLds_half_op_CI_CI_unitstride_sbrr_C2R_dirReg, .Lfunc_end0-fft_rtc_back_len200_factors_10_10_2_wgs_60_tpt_20_halfLds_half_op_CI_CI_unitstride_sbrr_C2R_dirReg
                                        ; -- End function
	.section	.AMDGPU.csdata,"",@progbits
; Kernel info:
; codeLenInByte = 6792
; NumSgprs: 41
; NumVgprs: 67
; ScratchSize: 0
; MemoryBound: 0
; FloatMode: 240
; IeeeMode: 1
; LDSByteSize: 0 bytes/workgroup (compile time only)
; SGPRBlocks: 5
; VGPRBlocks: 8
; NumSGPRsForWavesPerEU: 41
; NumVGPRsForWavesPerEU: 67
; Occupancy: 16
; WaveLimiterHint : 1
; COMPUTE_PGM_RSRC2:SCRATCH_EN: 0
; COMPUTE_PGM_RSRC2:USER_SGPR: 2
; COMPUTE_PGM_RSRC2:TRAP_HANDLER: 0
; COMPUTE_PGM_RSRC2:TGID_X_EN: 1
; COMPUTE_PGM_RSRC2:TGID_Y_EN: 0
; COMPUTE_PGM_RSRC2:TGID_Z_EN: 0
; COMPUTE_PGM_RSRC2:TIDIG_COMP_CNT: 0
	.text
	.p2alignl 7, 3214868480
	.fill 96, 4, 3214868480
	.type	__hip_cuid_97d3d14762f3a123,@object ; @__hip_cuid_97d3d14762f3a123
	.section	.bss,"aw",@nobits
	.globl	__hip_cuid_97d3d14762f3a123
__hip_cuid_97d3d14762f3a123:
	.byte	0                               ; 0x0
	.size	__hip_cuid_97d3d14762f3a123, 1

	.ident	"AMD clang version 19.0.0git (https://github.com/RadeonOpenCompute/llvm-project roc-6.4.0 25133 c7fe45cf4b819c5991fe208aaa96edf142730f1d)"
	.section	".note.GNU-stack","",@progbits
	.addrsig
	.addrsig_sym __hip_cuid_97d3d14762f3a123
	.amdgpu_metadata
---
amdhsa.kernels:
  - .args:
      - .actual_access:  read_only
        .address_space:  global
        .offset:         0
        .size:           8
        .value_kind:     global_buffer
      - .offset:         8
        .size:           8
        .value_kind:     by_value
      - .actual_access:  read_only
        .address_space:  global
        .offset:         16
        .size:           8
        .value_kind:     global_buffer
      - .actual_access:  read_only
        .address_space:  global
        .offset:         24
        .size:           8
        .value_kind:     global_buffer
      - .actual_access:  read_only
        .address_space:  global
        .offset:         32
        .size:           8
        .value_kind:     global_buffer
      - .offset:         40
        .size:           8
        .value_kind:     by_value
      - .actual_access:  read_only
        .address_space:  global
        .offset:         48
        .size:           8
        .value_kind:     global_buffer
      - .actual_access:  read_only
        .address_space:  global
        .offset:         56
        .size:           8
        .value_kind:     global_buffer
      - .offset:         64
        .size:           4
        .value_kind:     by_value
      - .actual_access:  read_only
        .address_space:  global
        .offset:         72
        .size:           8
        .value_kind:     global_buffer
      - .actual_access:  read_only
        .address_space:  global
        .offset:         80
        .size:           8
        .value_kind:     global_buffer
      - .actual_access:  read_only
        .address_space:  global
        .offset:         88
        .size:           8
        .value_kind:     global_buffer
      - .actual_access:  write_only
        .address_space:  global
        .offset:         96
        .size:           8
        .value_kind:     global_buffer
    .group_segment_fixed_size: 0
    .kernarg_segment_align: 8
    .kernarg_segment_size: 104
    .language:       OpenCL C
    .language_version:
      - 2
      - 0
    .max_flat_workgroup_size: 60
    .name:           fft_rtc_back_len200_factors_10_10_2_wgs_60_tpt_20_halfLds_half_op_CI_CI_unitstride_sbrr_C2R_dirReg
    .private_segment_fixed_size: 0
    .sgpr_count:     41
    .sgpr_spill_count: 0
    .symbol:         fft_rtc_back_len200_factors_10_10_2_wgs_60_tpt_20_halfLds_half_op_CI_CI_unitstride_sbrr_C2R_dirReg.kd
    .uniform_work_group_size: 1
    .uses_dynamic_stack: false
    .vgpr_count:     67
    .vgpr_spill_count: 0
    .wavefront_size: 32
    .workgroup_processor_mode: 1
amdhsa.target:   amdgcn-amd-amdhsa--gfx1201
amdhsa.version:
  - 1
  - 2
...

	.end_amdgpu_metadata
